;; amdgpu-corpus repo=ROCm/rocFFT kind=compiled arch=gfx1201 opt=O3
	.text
	.amdgcn_target "amdgcn-amd-amdhsa--gfx1201"
	.amdhsa_code_object_version 6
	.protected	fft_rtc_fwd_len1300_factors_10_10_13_wgs_130_tpt_130_sp_ip_CI_sbrr_dirReg ; -- Begin function fft_rtc_fwd_len1300_factors_10_10_13_wgs_130_tpt_130_sp_ip_CI_sbrr_dirReg
	.globl	fft_rtc_fwd_len1300_factors_10_10_13_wgs_130_tpt_130_sp_ip_CI_sbrr_dirReg
	.p2align	8
	.type	fft_rtc_fwd_len1300_factors_10_10_13_wgs_130_tpt_130_sp_ip_CI_sbrr_dirReg,@function
fft_rtc_fwd_len1300_factors_10_10_13_wgs_130_tpt_130_sp_ip_CI_sbrr_dirReg: ; @fft_rtc_fwd_len1300_factors_10_10_13_wgs_130_tpt_130_sp_ip_CI_sbrr_dirReg
; %bb.0:
	s_clause 0x2
	s_load_b64 s[12:13], s[0:1], 0x18
	s_load_b128 s[4:7], s[0:1], 0x0
	s_load_b64 s[10:11], s[0:1], 0x50
	v_mul_u32_u24_e32 v1, 0x1f9, v0
	v_mov_b32_e32 v3, 0
	s_delay_alu instid0(VALU_DEP_2) | instskip(NEXT) | instid1(VALU_DEP_1)
	v_lshrrev_b32_e32 v1, 16, v1
	v_add_nc_u32_e32 v5, ttmp9, v1
	v_mov_b32_e32 v1, 0
	v_mov_b32_e32 v2, 0
	;; [unrolled: 1-line block ×3, first 2 shown]
	s_wait_kmcnt 0x0
	s_load_b64 s[8:9], s[12:13], 0x0
	v_cmp_lt_u64_e64 s2, s[6:7], 2
	s_delay_alu instid0(VALU_DEP_1)
	s_and_b32 vcc_lo, exec_lo, s2
	s_cbranch_vccnz .LBB0_8
; %bb.1:
	s_load_b64 s[2:3], s[0:1], 0x10
	v_mov_b32_e32 v1, 0
	v_mov_b32_e32 v2, 0
	s_add_nc_u64 s[14:15], s[12:13], 8
	s_mov_b64 s[16:17], 1
	s_wait_kmcnt 0x0
	s_add_nc_u64 s[18:19], s[2:3], 8
	s_mov_b32 s3, 0
.LBB0_2:                                ; =>This Inner Loop Header: Depth=1
	s_load_b64 s[20:21], s[18:19], 0x0
                                        ; implicit-def: $vgpr7_vgpr8
	s_mov_b32 s2, exec_lo
	s_wait_kmcnt 0x0
	v_or_b32_e32 v4, s21, v6
	s_delay_alu instid0(VALU_DEP_1)
	v_cmpx_ne_u64_e32 0, v[3:4]
	s_wait_alu 0xfffe
	s_xor_b32 s22, exec_lo, s2
	s_cbranch_execz .LBB0_4
; %bb.3:                                ;   in Loop: Header=BB0_2 Depth=1
	s_cvt_f32_u32 s2, s20
	s_cvt_f32_u32 s23, s21
	s_sub_nc_u64 s[26:27], 0, s[20:21]
	s_wait_alu 0xfffe
	s_delay_alu instid0(SALU_CYCLE_1) | instskip(SKIP_1) | instid1(SALU_CYCLE_2)
	s_fmamk_f32 s2, s23, 0x4f800000, s2
	s_wait_alu 0xfffe
	v_s_rcp_f32 s2, s2
	s_delay_alu instid0(TRANS32_DEP_1) | instskip(SKIP_1) | instid1(SALU_CYCLE_2)
	s_mul_f32 s2, s2, 0x5f7ffffc
	s_wait_alu 0xfffe
	s_mul_f32 s23, s2, 0x2f800000
	s_wait_alu 0xfffe
	s_delay_alu instid0(SALU_CYCLE_2) | instskip(SKIP_1) | instid1(SALU_CYCLE_2)
	s_trunc_f32 s23, s23
	s_wait_alu 0xfffe
	s_fmamk_f32 s2, s23, 0xcf800000, s2
	s_cvt_u32_f32 s25, s23
	s_wait_alu 0xfffe
	s_delay_alu instid0(SALU_CYCLE_1) | instskip(SKIP_1) | instid1(SALU_CYCLE_2)
	s_cvt_u32_f32 s24, s2
	s_wait_alu 0xfffe
	s_mul_u64 s[28:29], s[26:27], s[24:25]
	s_wait_alu 0xfffe
	s_mul_hi_u32 s31, s24, s29
	s_mul_i32 s30, s24, s29
	s_mul_hi_u32 s2, s24, s28
	s_mul_i32 s33, s25, s28
	s_wait_alu 0xfffe
	s_add_nc_u64 s[30:31], s[2:3], s[30:31]
	s_mul_hi_u32 s23, s25, s28
	s_mul_hi_u32 s34, s25, s29
	s_add_co_u32 s2, s30, s33
	s_wait_alu 0xfffe
	s_add_co_ci_u32 s2, s31, s23
	s_mul_i32 s28, s25, s29
	s_add_co_ci_u32 s29, s34, 0
	s_wait_alu 0xfffe
	s_add_nc_u64 s[28:29], s[2:3], s[28:29]
	s_wait_alu 0xfffe
	v_add_co_u32 v4, s2, s24, s28
	s_delay_alu instid0(VALU_DEP_1) | instskip(SKIP_1) | instid1(VALU_DEP_1)
	s_cmp_lg_u32 s2, 0
	s_add_co_ci_u32 s25, s25, s29
	v_readfirstlane_b32 s24, v4
	s_wait_alu 0xfffe
	s_delay_alu instid0(VALU_DEP_1)
	s_mul_u64 s[26:27], s[26:27], s[24:25]
	s_wait_alu 0xfffe
	s_mul_hi_u32 s29, s24, s27
	s_mul_i32 s28, s24, s27
	s_mul_hi_u32 s2, s24, s26
	s_mul_i32 s30, s25, s26
	s_wait_alu 0xfffe
	s_add_nc_u64 s[28:29], s[2:3], s[28:29]
	s_mul_hi_u32 s23, s25, s26
	s_mul_hi_u32 s24, s25, s27
	s_wait_alu 0xfffe
	s_add_co_u32 s2, s28, s30
	s_add_co_ci_u32 s2, s29, s23
	s_mul_i32 s26, s25, s27
	s_add_co_ci_u32 s27, s24, 0
	s_wait_alu 0xfffe
	s_add_nc_u64 s[26:27], s[2:3], s[26:27]
	s_wait_alu 0xfffe
	v_add_co_u32 v4, s2, v4, s26
	s_delay_alu instid0(VALU_DEP_1) | instskip(SKIP_1) | instid1(VALU_DEP_1)
	s_cmp_lg_u32 s2, 0
	s_add_co_ci_u32 s2, s25, s27
	v_mul_hi_u32 v13, v5, v4
	s_wait_alu 0xfffe
	v_mad_co_u64_u32 v[7:8], null, v5, s2, 0
	v_mad_co_u64_u32 v[9:10], null, v6, v4, 0
	;; [unrolled: 1-line block ×3, first 2 shown]
	s_delay_alu instid0(VALU_DEP_3) | instskip(SKIP_1) | instid1(VALU_DEP_4)
	v_add_co_u32 v4, vcc_lo, v13, v7
	s_wait_alu 0xfffd
	v_add_co_ci_u32_e32 v7, vcc_lo, 0, v8, vcc_lo
	s_delay_alu instid0(VALU_DEP_2) | instskip(SKIP_1) | instid1(VALU_DEP_2)
	v_add_co_u32 v4, vcc_lo, v4, v9
	s_wait_alu 0xfffd
	v_add_co_ci_u32_e32 v4, vcc_lo, v7, v10, vcc_lo
	s_wait_alu 0xfffd
	v_add_co_ci_u32_e32 v7, vcc_lo, 0, v12, vcc_lo
	s_delay_alu instid0(VALU_DEP_2) | instskip(SKIP_1) | instid1(VALU_DEP_2)
	v_add_co_u32 v4, vcc_lo, v4, v11
	s_wait_alu 0xfffd
	v_add_co_ci_u32_e32 v9, vcc_lo, 0, v7, vcc_lo
	s_delay_alu instid0(VALU_DEP_2) | instskip(SKIP_1) | instid1(VALU_DEP_3)
	v_mul_lo_u32 v10, s21, v4
	v_mad_co_u64_u32 v[7:8], null, s20, v4, 0
	v_mul_lo_u32 v11, s20, v9
	s_delay_alu instid0(VALU_DEP_2) | instskip(NEXT) | instid1(VALU_DEP_2)
	v_sub_co_u32 v7, vcc_lo, v5, v7
	v_add3_u32 v8, v8, v11, v10
	s_delay_alu instid0(VALU_DEP_1) | instskip(SKIP_1) | instid1(VALU_DEP_1)
	v_sub_nc_u32_e32 v10, v6, v8
	s_wait_alu 0xfffd
	v_subrev_co_ci_u32_e64 v10, s2, s21, v10, vcc_lo
	v_add_co_u32 v11, s2, v4, 2
	s_wait_alu 0xf1ff
	v_add_co_ci_u32_e64 v12, s2, 0, v9, s2
	v_sub_co_u32 v13, s2, v7, s20
	v_sub_co_ci_u32_e32 v8, vcc_lo, v6, v8, vcc_lo
	s_wait_alu 0xf1ff
	v_subrev_co_ci_u32_e64 v10, s2, 0, v10, s2
	s_delay_alu instid0(VALU_DEP_3) | instskip(NEXT) | instid1(VALU_DEP_3)
	v_cmp_le_u32_e32 vcc_lo, s20, v13
	v_cmp_eq_u32_e64 s2, s21, v8
	s_wait_alu 0xfffd
	v_cndmask_b32_e64 v13, 0, -1, vcc_lo
	v_cmp_le_u32_e32 vcc_lo, s21, v10
	s_wait_alu 0xfffd
	v_cndmask_b32_e64 v14, 0, -1, vcc_lo
	v_cmp_le_u32_e32 vcc_lo, s20, v7
	;; [unrolled: 3-line block ×3, first 2 shown]
	s_wait_alu 0xfffd
	v_cndmask_b32_e64 v15, 0, -1, vcc_lo
	v_cmp_eq_u32_e32 vcc_lo, s21, v10
	s_wait_alu 0xf1ff
	s_delay_alu instid0(VALU_DEP_2)
	v_cndmask_b32_e64 v7, v15, v7, s2
	s_wait_alu 0xfffd
	v_cndmask_b32_e32 v10, v14, v13, vcc_lo
	v_add_co_u32 v13, vcc_lo, v4, 1
	s_wait_alu 0xfffd
	v_add_co_ci_u32_e32 v14, vcc_lo, 0, v9, vcc_lo
	s_delay_alu instid0(VALU_DEP_3) | instskip(SKIP_2) | instid1(VALU_DEP_3)
	v_cmp_ne_u32_e32 vcc_lo, 0, v10
	s_wait_alu 0xfffd
	v_cndmask_b32_e32 v10, v13, v11, vcc_lo
	v_cndmask_b32_e32 v8, v14, v12, vcc_lo
	v_cmp_ne_u32_e32 vcc_lo, 0, v7
	s_wait_alu 0xfffd
	s_delay_alu instid0(VALU_DEP_2)
	v_dual_cndmask_b32 v7, v4, v10 :: v_dual_cndmask_b32 v8, v9, v8
.LBB0_4:                                ;   in Loop: Header=BB0_2 Depth=1
	s_wait_alu 0xfffe
	s_and_not1_saveexec_b32 s2, s22
	s_cbranch_execz .LBB0_6
; %bb.5:                                ;   in Loop: Header=BB0_2 Depth=1
	v_cvt_f32_u32_e32 v4, s20
	s_sub_co_i32 s22, 0, s20
	s_delay_alu instid0(VALU_DEP_1) | instskip(NEXT) | instid1(TRANS32_DEP_1)
	v_rcp_iflag_f32_e32 v4, v4
	v_mul_f32_e32 v4, 0x4f7ffffe, v4
	s_delay_alu instid0(VALU_DEP_1) | instskip(SKIP_1) | instid1(VALU_DEP_1)
	v_cvt_u32_f32_e32 v4, v4
	s_wait_alu 0xfffe
	v_mul_lo_u32 v7, s22, v4
	s_delay_alu instid0(VALU_DEP_1) | instskip(NEXT) | instid1(VALU_DEP_1)
	v_mul_hi_u32 v7, v4, v7
	v_add_nc_u32_e32 v4, v4, v7
	s_delay_alu instid0(VALU_DEP_1) | instskip(NEXT) | instid1(VALU_DEP_1)
	v_mul_hi_u32 v4, v5, v4
	v_mul_lo_u32 v7, v4, s20
	v_add_nc_u32_e32 v8, 1, v4
	s_delay_alu instid0(VALU_DEP_2) | instskip(NEXT) | instid1(VALU_DEP_1)
	v_sub_nc_u32_e32 v7, v5, v7
	v_subrev_nc_u32_e32 v9, s20, v7
	v_cmp_le_u32_e32 vcc_lo, s20, v7
	s_wait_alu 0xfffd
	s_delay_alu instid0(VALU_DEP_2) | instskip(NEXT) | instid1(VALU_DEP_1)
	v_dual_cndmask_b32 v7, v7, v9 :: v_dual_cndmask_b32 v4, v4, v8
	v_cmp_le_u32_e32 vcc_lo, s20, v7
	s_delay_alu instid0(VALU_DEP_2) | instskip(SKIP_1) | instid1(VALU_DEP_1)
	v_add_nc_u32_e32 v8, 1, v4
	s_wait_alu 0xfffd
	v_dual_cndmask_b32 v7, v4, v8 :: v_dual_mov_b32 v8, v3
.LBB0_6:                                ;   in Loop: Header=BB0_2 Depth=1
	s_wait_alu 0xfffe
	s_or_b32 exec_lo, exec_lo, s2
	s_load_b64 s[22:23], s[14:15], 0x0
	s_delay_alu instid0(VALU_DEP_1)
	v_mul_lo_u32 v4, v8, s20
	v_mul_lo_u32 v11, v7, s21
	v_mad_co_u64_u32 v[9:10], null, v7, s20, 0
	s_add_nc_u64 s[16:17], s[16:17], 1
	s_add_nc_u64 s[14:15], s[14:15], 8
	s_wait_alu 0xfffe
	v_cmp_ge_u64_e64 s2, s[16:17], s[6:7]
	s_add_nc_u64 s[18:19], s[18:19], 8
	s_delay_alu instid0(VALU_DEP_2) | instskip(NEXT) | instid1(VALU_DEP_3)
	v_add3_u32 v4, v10, v11, v4
	v_sub_co_u32 v5, vcc_lo, v5, v9
	s_wait_alu 0xfffd
	s_delay_alu instid0(VALU_DEP_2) | instskip(SKIP_3) | instid1(VALU_DEP_2)
	v_sub_co_ci_u32_e32 v4, vcc_lo, v6, v4, vcc_lo
	s_and_b32 vcc_lo, exec_lo, s2
	s_wait_kmcnt 0x0
	v_mul_lo_u32 v6, s23, v5
	v_mul_lo_u32 v4, s22, v4
	v_mad_co_u64_u32 v[1:2], null, s22, v5, v[1:2]
	s_delay_alu instid0(VALU_DEP_1)
	v_add3_u32 v2, v6, v2, v4
	s_wait_alu 0xfffe
	s_cbranch_vccnz .LBB0_9
; %bb.7:                                ;   in Loop: Header=BB0_2 Depth=1
	v_dual_mov_b32 v5, v7 :: v_dual_mov_b32 v6, v8
	s_branch .LBB0_2
.LBB0_8:
	v_dual_mov_b32 v8, v6 :: v_dual_mov_b32 v7, v5
.LBB0_9:
	s_lshl_b64 s[2:3], s[6:7], 3
	v_mul_hi_u32 v5, 0x1f81f82, v0
	s_wait_alu 0xfffe
	s_add_nc_u64 s[2:3], s[12:13], s[2:3]
                                        ; implicit-def: $vgpr13
                                        ; implicit-def: $vgpr15
                                        ; implicit-def: $vgpr11
                                        ; implicit-def: $vgpr17
                                        ; implicit-def: $vgpr19
                                        ; implicit-def: $vgpr9
	s_load_b64 s[2:3], s[2:3], 0x0
	s_load_b64 s[0:1], s[0:1], 0x20
	s_wait_kmcnt 0x0
	v_mul_lo_u32 v3, s2, v8
	v_mul_lo_u32 v4, s3, v7
	v_mad_co_u64_u32 v[1:2], null, s2, v7, v[1:2]
	v_cmp_gt_u64_e32 vcc_lo, s[0:1], v[7:8]
                                        ; implicit-def: $vgpr7
	s_delay_alu instid0(VALU_DEP_2) | instskip(SKIP_1) | instid1(VALU_DEP_2)
	v_add3_u32 v2, v4, v2, v3
	v_mul_u32_u24_e32 v3, 0x82, v5
                                        ; implicit-def: $vgpr5
	v_lshlrev_b64_e32 v[24:25], 3, v[1:2]
	s_delay_alu instid0(VALU_DEP_2)
	v_sub_nc_u32_e32 v28, v0, v3
                                        ; implicit-def: $vgpr1
                                        ; implicit-def: $vgpr3
	s_and_saveexec_b32 s1, vcc_lo
	s_cbranch_execz .LBB0_11
; %bb.10:
	s_delay_alu instid0(VALU_DEP_1) | instskip(SKIP_3) | instid1(VALU_DEP_4)
	v_add_nc_u32_e32 v10, 0x82, v28
	v_mad_co_u64_u32 v[0:1], null, s8, v28, 0
	v_add_nc_u32_e32 v11, 0x104, v28
	v_add_nc_u32_e32 v13, 0x208, v28
	v_mad_co_u64_u32 v[2:3], null, s8, v10, 0
	v_add_co_u32 v26, s0, s10, v24
	s_delay_alu instid0(VALU_DEP_4) | instskip(SKIP_2) | instid1(VALU_DEP_4)
	v_mad_co_u64_u32 v[4:5], null, s8, v11, 0
	s_wait_alu 0xf1ff
	v_add_co_ci_u32_e64 v27, s0, s11, v25, s0
	v_mad_co_u64_u32 v[8:9], null, s9, v28, v[1:2]
	v_add_nc_u32_e32 v29, 0x492, v28
	v_add_nc_u32_e32 v20, 0x30c, v28
	s_delay_alu instid0(VALU_DEP_3) | instskip(SKIP_2) | instid1(VALU_DEP_4)
	v_dual_mov_b32 v1, v8 :: v_dual_add_nc_u32 v22, 0x38e, v28
	v_mad_co_u64_u32 v[9:10], null, s9, v10, v[3:4]
	v_add_nc_u32_e32 v12, 0x186, v28
	v_mad_co_u64_u32 v[16:17], null, s8, v20, 0
	s_delay_alu instid0(VALU_DEP_4) | instskip(SKIP_3) | instid1(VALU_DEP_4)
	v_lshlrev_b64_e32 v[0:1], 3, v[0:1]
	v_mad_co_u64_u32 v[18:19], null, s8, v22, 0
	v_mov_b32_e32 v3, v9
	v_mad_co_u64_u32 v[6:7], null, s8, v12, 0
	v_add_co_u32 v0, s0, v26, v0
	s_delay_alu instid0(VALU_DEP_3) | instskip(SKIP_2) | instid1(VALU_DEP_4)
	v_lshlrev_b64_e32 v[2:3], 3, v[2:3]
	s_wait_alu 0xf1ff
	v_add_co_ci_u32_e64 v1, s0, v27, v1, s0
	v_mad_co_u64_u32 v[8:9], null, s9, v11, v[5:6]
	s_delay_alu instid0(VALU_DEP_3) | instskip(SKIP_2) | instid1(VALU_DEP_3)
	v_add_co_u32 v2, s0, v26, v2
	s_wait_alu 0xf1ff
	v_add_co_ci_u32_e64 v3, s0, v27, v3, s0
	v_mad_co_u64_u32 v[9:10], null, s9, v12, v[7:8]
	v_mad_co_u64_u32 v[10:11], null, s8, v13, 0
	v_dual_mov_b32 v5, v8 :: v_dual_add_nc_u32 v12, 0x28a, v28
	s_delay_alu instid0(VALU_DEP_3) | instskip(NEXT) | instid1(VALU_DEP_2)
	v_mov_b32_e32 v7, v9
	v_lshlrev_b64_e32 v[4:5], 3, v[4:5]
	s_delay_alu instid0(VALU_DEP_4) | instskip(NEXT) | instid1(VALU_DEP_4)
	v_mov_b32_e32 v8, v11
	v_mad_co_u64_u32 v[14:15], null, s8, v12, 0
	s_delay_alu instid0(VALU_DEP_4) | instskip(NEXT) | instid1(VALU_DEP_3)
	v_lshlrev_b64_e32 v[6:7], 3, v[6:7]
	v_mad_co_u64_u32 v[8:9], null, s9, v13, v[8:9]
	v_add_co_u32 v4, s0, v26, v4
	s_wait_alu 0xf1ff
	v_add_co_ci_u32_e64 v5, s0, v27, v5, s0
	s_delay_alu instid0(VALU_DEP_4) | instskip(NEXT) | instid1(VALU_DEP_4)
	v_add_co_u32 v6, s0, v26, v6
	v_dual_mov_b32 v11, v8 :: v_dual_mov_b32 v8, v15
	s_wait_alu 0xf1ff
	v_add_co_ci_u32_e64 v7, s0, v27, v7, s0
	s_delay_alu instid0(VALU_DEP_2)
	v_mad_co_u64_u32 v[8:9], null, s9, v12, v[8:9]
	s_clause 0x3
	global_load_b64 v[0:1], v[0:1], off
	global_load_b64 v[2:3], v[2:3], off
	;; [unrolled: 1-line block ×4, first 2 shown]
	v_mov_b32_e32 v6, v17
	v_lshlrev_b64_e32 v[9:10], 3, v[10:11]
	v_add_nc_u32_e32 v11, 0x410, v28
	v_mov_b32_e32 v15, v8
	s_delay_alu instid0(VALU_DEP_4) | instskip(SKIP_1) | instid1(VALU_DEP_4)
	v_mad_co_u64_u32 v[6:7], null, s9, v20, v[6:7]
	v_mov_b32_e32 v7, v19
	v_mad_co_u64_u32 v[20:21], null, s8, v11, 0
	s_delay_alu instid0(VALU_DEP_4) | instskip(NEXT) | instid1(VALU_DEP_3)
	v_lshlrev_b64_e32 v[14:15], 3, v[14:15]
	v_mad_co_u64_u32 v[7:8], null, s9, v22, v[7:8]
	v_mad_co_u64_u32 v[22:23], null, s8, v29, 0
	v_add_co_u32 v8, s0, v26, v9
	s_wait_alu 0xf1ff
	v_add_co_ci_u32_e64 v9, s0, v27, v10, s0
	v_dual_mov_b32 v10, v21 :: v_dual_mov_b32 v17, v6
	v_mov_b32_e32 v19, v7
	s_delay_alu instid0(VALU_DEP_2)
	v_mad_co_u64_u32 v[6:7], null, s9, v11, v[10:11]
	v_mov_b32_e32 v7, v23
	v_add_co_u32 v10, s0, v26, v14
	s_wait_alu 0xf1ff
	v_add_co_ci_u32_e64 v11, s0, v27, v15, s0
	v_lshlrev_b64_e32 v[14:15], 3, v[16:17]
	v_mad_co_u64_u32 v[16:17], null, s9, v29, v[7:8]
	v_mov_b32_e32 v21, v6
	v_lshlrev_b64_e32 v[17:18], 3, v[18:19]
	s_delay_alu instid0(VALU_DEP_4)
	v_add_co_u32 v6, s0, v26, v14
	s_wait_alu 0xf1ff
	v_add_co_ci_u32_e64 v7, s0, v27, v15, s0
	v_mov_b32_e32 v23, v16
	v_lshlrev_b64_e32 v[14:15], 3, v[20:21]
	v_add_co_u32 v19, s0, v26, v17
	s_wait_alu 0xf1ff
	v_add_co_ci_u32_e64 v20, s0, v27, v18, s0
	v_lshlrev_b64_e32 v[16:17], 3, v[22:23]
	s_delay_alu instid0(VALU_DEP_4) | instskip(SKIP_2) | instid1(VALU_DEP_3)
	v_add_co_u32 v21, s0, v26, v14
	s_wait_alu 0xf1ff
	v_add_co_ci_u32_e64 v22, s0, v27, v15, s0
	v_add_co_u32 v26, s0, v26, v16
	s_wait_alu 0xf1ff
	v_add_co_ci_u32_e64 v27, s0, v27, v17, s0
	s_clause 0x5
	global_load_b64 v[14:15], v[8:9], off
	global_load_b64 v[10:11], v[10:11], off
	;; [unrolled: 1-line block ×6, first 2 shown]
.LBB0_11:
	s_wait_alu 0xfffe
	s_or_b32 exec_lo, exec_lo, s1
	s_wait_loadcnt 0x3
	v_dual_add_f32 v20, v14, v16 :: v_dual_sub_f32 v23, v15, v17
	s_wait_loadcnt 0x1
	v_dual_add_f32 v21, v0, v12 :: v_dual_sub_f32 v22, v13, v19
	v_dual_sub_f32 v26, v12, v14 :: v_dual_sub_f32 v27, v18, v16
	s_delay_alu instid0(VALU_DEP_3) | instskip(SKIP_1) | instid1(VALU_DEP_3)
	v_fma_f32 v20, -0.5, v20, v0
	v_dual_add_f32 v29, v12, v18 :: v_dual_sub_f32 v30, v14, v12
	v_dual_add_f32 v21, v21, v14 :: v_dual_add_f32 v26, v26, v27
	s_delay_alu instid0(VALU_DEP_3) | instskip(NEXT) | instid1(VALU_DEP_2)
	v_dual_fmamk_f32 v31, v22, 0x3f737871, v20 :: v_dual_add_f32 v32, v1, v13
	v_dual_fmac_f32 v0, -0.5, v29 :: v_dual_add_f32 v21, v21, v16
	v_dual_fmac_f32 v20, 0xbf737871, v22 :: v_dual_add_f32 v33, v15, v17
	v_sub_f32_e32 v27, v16, v18
	s_delay_alu instid0(VALU_DEP_4) | instskip(NEXT) | instid1(VALU_DEP_4)
	v_dual_fmac_f32 v31, 0x3f167918, v23 :: v_dual_sub_f32 v12, v12, v18
	v_dual_fmamk_f32 v29, v23, 0xbf737871, v0 :: v_dual_sub_f32 v14, v14, v16
	v_dual_add_f32 v21, v21, v18 :: v_dual_fmac_f32 v0, 0x3f737871, v23
	v_fmac_f32_e32 v20, 0xbf167918, v23
	v_add_f32_e32 v27, v30, v27
	v_add_f32_e32 v23, v32, v15
	v_fma_f32 v30, -0.5, v33, v1
	v_fmac_f32_e32 v0, 0xbf167918, v22
	v_fmac_f32_e32 v31, 0x3e9e377a, v26
	v_dual_fmac_f32 v29, 0x3f167918, v22 :: v_dual_sub_f32 v16, v13, v15
	v_add_f32_e32 v18, v23, v17
	v_dual_fmamk_f32 v22, v12, 0xbf737871, v30 :: v_dual_add_f32 v23, v13, v19
	s_delay_alu instid0(VALU_DEP_3) | instskip(SKIP_2) | instid1(VALU_DEP_4)
	v_dual_fmac_f32 v20, 0x3e9e377a, v26 :: v_dual_fmac_f32 v29, 0x3e9e377a, v27
	v_sub_f32_e32 v26, v19, v17
	v_dual_fmac_f32 v0, 0x3e9e377a, v27 :: v_dual_sub_f32 v13, v15, v13
	v_dual_fmac_f32 v1, -0.5, v23 :: v_dual_fmac_f32 v22, 0xbf167918, v14
	s_delay_alu instid0(VALU_DEP_3) | instskip(SKIP_1) | instid1(VALU_DEP_3)
	v_dual_add_f32 v23, v18, v19 :: v_dual_add_f32 v16, v16, v26
	v_dual_fmac_f32 v30, 0x3f737871, v12 :: v_dual_sub_f32 v15, v17, v19
	v_fmamk_f32 v26, v14, 0x3f737871, v1
	v_add_f32_e32 v17, v10, v8
	v_fmac_f32_e32 v1, 0xbf737871, v14
	s_delay_alu instid0(VALU_DEP_4)
	v_dual_fmac_f32 v30, 0x3f167918, v14 :: v_dual_add_f32 v13, v13, v15
	s_wait_loadcnt 0x0
	v_dual_fmac_f32 v26, 0xbf167918, v12 :: v_dual_add_f32 v27, v4, v6
	v_add_f32_e32 v14, v2, v4
	v_fmac_f32_e32 v22, 0x3e9e377a, v16
	v_fma_f32 v15, -0.5, v17, v2
	s_delay_alu instid0(VALU_DEP_4) | instskip(SKIP_4) | instid1(VALU_DEP_3)
	v_dual_sub_f32 v17, v5, v7 :: v_dual_fmac_f32 v26, 0x3e9e377a, v13
	v_sub_f32_e32 v19, v6, v8
	v_dual_fmac_f32 v1, 0x3f167918, v12 :: v_dual_add_f32 v12, v14, v10
	v_sub_f32_e32 v18, v4, v10
	v_fmac_f32_e32 v30, 0x3e9e377a, v16
	v_dual_fmac_f32 v2, -0.5, v27 :: v_dual_fmac_f32 v1, 0x3e9e377a, v13
	s_delay_alu instid0(VALU_DEP_4)
	v_add_f32_e32 v12, v12, v8
	v_fmamk_f32 v14, v17, 0x3f737871, v15
	v_dual_fmac_f32 v15, 0xbf737871, v17 :: v_dual_add_f32 v18, v18, v19
	v_dual_sub_f32 v16, v11, v9 :: v_dual_sub_f32 v27, v8, v6
	v_sub_f32_e32 v8, v10, v8
	v_cmp_gt_u32_e64 s0, 0x64, v28
	s_delay_alu instid0(VALU_DEP_3) | instskip(NEXT) | instid1(VALU_DEP_1)
	v_fmac_f32_e32 v15, 0xbf167918, v16
	v_fmac_f32_e32 v15, 0x3e9e377a, v18
	v_fmamk_f32 v13, v16, 0xbf737871, v2
	v_fmac_f32_e32 v2, 0x3f737871, v16
	s_delay_alu instid0(VALU_DEP_2)
	v_fmac_f32_e32 v13, 0x3f167918, v17
	v_add_f32_e32 v19, v6, v12
	v_fmac_f32_e32 v14, 0x3f167918, v16
	v_add_f32_e32 v12, v11, v9
	;; [unrolled: 2-line block ×3, first 2 shown]
	s_delay_alu instid0(VALU_DEP_3) | instskip(SKIP_3) | instid1(VALU_DEP_3)
	v_fma_f32 v16, -0.5, v12, v3
	v_add_f32_e32 v12, v5, v7
	v_fmac_f32_e32 v14, 0x3e9e377a, v18
	v_sub_f32_e32 v18, v10, v4
	v_dual_sub_f32 v4, v4, v6 :: v_dual_fmac_f32 v3, -0.5, v12
	v_sub_f32_e32 v10, v5, v11
	s_delay_alu instid0(VALU_DEP_3) | instskip(SKIP_2) | instid1(VALU_DEP_3)
	v_dual_add_f32 v6, v18, v27 :: v_dual_sub_f32 v5, v11, v5
	v_mul_f32_e32 v27, 0x3f4f1bbd, v14
	v_mul_f32_e32 v36, 0xbf167918, v14
	v_fmac_f32_e32 v13, 0x3e9e377a, v6
	v_fmac_f32_e32 v2, 0x3e9e377a, v6
	v_dual_add_f32 v6, v17, v11 :: v_dual_fmamk_f32 v17, v8, 0x3f737871, v3
	v_dual_sub_f32 v11, v9, v7 :: v_dual_fmamk_f32 v18, v4, 0xbf737871, v16
	s_delay_alu instid0(VALU_DEP_4) | instskip(NEXT) | instid1(VALU_DEP_3)
	v_mul_f32_e32 v37, 0xbf737871, v13
	v_dual_sub_f32 v12, v7, v9 :: v_dual_fmac_f32 v17, 0xbf167918, v4
	s_delay_alu instid0(VALU_DEP_3) | instskip(NEXT) | instid1(VALU_DEP_1)
	v_add_f32_e32 v5, v5, v11
	v_fmac_f32_e32 v17, 0x3e9e377a, v5
	v_fmac_f32_e32 v3, 0xbf737871, v8
	s_delay_alu instid0(VALU_DEP_2) | instskip(SKIP_1) | instid1(VALU_DEP_3)
	v_fmac_f32_e32 v37, 0x3e9e377a, v17
	v_fmac_f32_e32 v16, 0x3f737871, v4
	v_dual_fmac_f32 v3, 0x3f167918, v4 :: v_dual_add_f32 v4, v6, v9
	v_mul_f32_e32 v32, 0x3f737871, v17
	s_delay_alu instid0(VALU_DEP_2) | instskip(NEXT) | instid1(VALU_DEP_3)
	v_fmac_f32_e32 v3, 0x3e9e377a, v5
	v_add_f32_e32 v33, v7, v4
	v_fmac_f32_e32 v18, 0xbf167918, v8
	v_dual_mul_f32 v5, 0x3e9e377a, v2 :: v_dual_add_f32 v10, v10, v12
	v_dual_add_f32 v4, v21, v19 :: v_dual_and_b32 v7, 0xff, v28
	s_delay_alu instid0(VALU_DEP_2) | instskip(NEXT) | instid1(VALU_DEP_3)
	v_fma_f32 v34, 0x3f737871, v3, -v5
	v_dual_add_f32 v5, v23, v33 :: v_dual_fmac_f32 v18, 0x3e9e377a, v10
	v_mul_f32_e32 v3, 0x3e9e377a, v3
	s_delay_alu instid0(VALU_DEP_4) | instskip(NEXT) | instid1(VALU_DEP_3)
	v_mul_lo_u16 v7, 0xcd, v7
	v_fmac_f32_e32 v27, 0x3f167918, v18
	s_delay_alu instid0(VALU_DEP_3)
	v_fma_f32 v38, 0xbf737871, v2, -v3
	v_fmac_f32_e32 v16, 0x3f167918, v8
	v_fmac_f32_e32 v36, 0x3f4f1bbd, v18
	v_lshrrev_b16 v40, 11, v7
	v_sub_f32_e32 v2, v21, v19
	v_add_f32_e32 v11, v1, v38
	s_delay_alu instid0(VALU_DEP_4) | instskip(SKIP_3) | instid1(VALU_DEP_4)
	v_dual_fmac_f32 v16, 0x3e9e377a, v10 :: v_dual_add_f32 v7, v22, v36
	v_mul_f32_e32 v6, 0x3f4f1bbd, v15
	v_mul_lo_u16 v3, v40, 10
	v_mul_u32_u24_e32 v19, 10, v28
	v_dual_mul_f32 v9, 0x3f4f1bbd, v16 :: v_dual_sub_f32 v14, v31, v27
	s_delay_alu instid0(VALU_DEP_4) | instskip(NEXT) | instid1(VALU_DEP_4)
	v_fma_f32 v35, 0x3f167918, v16, -v6
	v_sub_nc_u16 v17, v28, v3
	v_sub_f32_e32 v3, v23, v33
	s_delay_alu instid0(VALU_DEP_4) | instskip(SKIP_3) | instid1(VALU_DEP_3)
	v_fma_f32 v39, 0xbf167918, v15, -v9
	v_fmac_f32_e32 v32, 0x3e9e377a, v13
	v_dual_add_f32 v12, v20, v35 :: v_dual_sub_f32 v1, v1, v38
	v_sub_f32_e32 v18, v20, v35
	v_dual_add_f32 v13, v30, v39 :: v_dual_add_f32 v8, v29, v32
	v_and_b32_e32 v23, 0xff, v17
	v_lshl_add_u32 v20, v19, 3, 0
	v_dual_add_f32 v10, v0, v34 :: v_dual_sub_f32 v17, v26, v37
	v_add_f32_e32 v9, v26, v37
	s_delay_alu instid0(VALU_DEP_4) | instskip(NEXT) | instid1(VALU_DEP_4)
	v_mul_u32_u24_e32 v21, 9, v23
	v_mad_i32_i24 v26, 0xffffffb8, v28, v20
	v_lshlrev_b32_e32 v23, 3, v23
	v_dual_add_f32 v6, v31, v27 :: v_dual_sub_f32 v15, v22, v36
	s_delay_alu instid0(VALU_DEP_3)
	v_dual_sub_f32 v16, v29, v32 :: v_dual_add_nc_u32 v27, 0x800, v26
	v_dual_sub_f32 v0, v0, v34 :: v_dual_sub_f32 v19, v30, v39
	v_add_nc_u32_e32 v33, 0x1000, v26
	ds_store_2addr_b64 v20, v[4:5], v[6:7] offset1:1
	ds_store_2addr_b64 v20, v[8:9], v[10:11] offset0:2 offset1:3
	ds_store_2addr_b64 v20, v[12:13], v[2:3] offset0:4 offset1:5
	;; [unrolled: 1-line block ×4, first 2 shown]
	v_lshlrev_b32_e32 v16, 3, v21
	global_wb scope:SCOPE_SE
	s_wait_dscnt 0x0
	s_barrier_signal -1
	s_barrier_wait -1
	global_inv scope:SCOPE_SE
	s_clause 0x4
	global_load_b128 v[0:3], v16, s[4:5]
	global_load_b128 v[4:7], v16, s[4:5] offset:16
	global_load_b128 v[8:11], v16, s[4:5] offset:32
	;; [unrolled: 1-line block ×3, first 2 shown]
	global_load_b64 v[21:22], v16, s[4:5] offset:64
	ds_load_2addr_b64 v[16:19], v26 offset1:130
	ds_load_2addr_b64 v[29:32], v27 offset0:4 offset1:134
	v_add_nc_u32_e32 v37, 0x1800, v26
	v_add_nc_u32_e32 v26, 0x2000, v26
	v_and_b32_e32 v27, 0xffff, v40
	ds_load_2addr_b64 v[33:36], v33 offset0:8 offset1:138
	ds_load_2addr_b64 v[41:44], v26 offset0:16 offset1:146
	v_mul_u32_u24_e32 v27, 0x320, v27
	s_delay_alu instid0(VALU_DEP_1)
	v_add3_u32 v23, 0, v27, v23
	s_wait_loadcnt_dscnt 0x403
	v_mul_f32_e32 v26, v1, v19
	ds_load_2addr_b64 v[37:40], v37 offset0:12 offset1:142
	v_mul_f32_e32 v27, v1, v18
	s_wait_dscnt 0x3
	v_mul_f32_e32 v1, v3, v30
	v_mul_f32_e32 v3, v3, v29
	s_wait_loadcnt_dscnt 0x302
	v_dual_mul_f32 v45, v5, v32 :: v_dual_mul_f32 v46, v7, v34
	s_wait_loadcnt_dscnt 0x101
	v_dual_mul_f32 v7, v7, v33 :: v_dual_mul_f32 v50, v42, v15
	v_fma_f32 v18, v0, v18, -v26
	v_fmac_f32_e32 v27, v0, v19
	v_fmac_f32_e32 v3, v2, v30
	s_delay_alu instid0(VALU_DEP_4)
	v_fmac_f32_e32 v7, v6, v34
	v_mul_f32_e32 v5, v5, v31
	global_wb scope:SCOPE_SE
	s_wait_loadcnt_dscnt 0x0
	s_barrier_signal -1
	s_barrier_wait -1
	global_inv scope:SCOPE_SE
	v_mul_f32_e32 v48, v38, v11
	v_fma_f32 v0, v2, v29, -v1
	v_fma_f32 v2, v6, v33, -v46
	;; [unrolled: 1-line block ×3, first 2 shown]
	s_delay_alu instid0(VALU_DEP_4) | instskip(SKIP_1) | instid1(VALU_DEP_1)
	v_fma_f32 v6, v37, v10, -v48
	v_mul_f32_e32 v11, v37, v11
	v_fmac_f32_e32 v11, v38, v10
	v_fma_f32 v10, v41, v14, -v50
	v_mul_f32_e32 v15, v41, v15
	v_mul_f32_e32 v49, v40, v13
	s_delay_alu instid0(VALU_DEP_3) | instskip(NEXT) | instid1(VALU_DEP_3)
	v_dual_mul_f32 v13, v39, v13 :: v_dual_sub_f32 v30, v10, v6
	v_dual_fmac_f32 v15, v42, v14 :: v_dual_add_f32 v14, v16, v0
	s_delay_alu instid0(VALU_DEP_1)
	v_dual_sub_f32 v38, v15, v11 :: v_dual_mul_f32 v51, v44, v22
	v_add_f32_e32 v34, v17, v3
	v_dual_mul_f32 v22, v43, v22 :: v_dual_mul_f32 v47, v9, v36
	v_mul_f32_e32 v9, v9, v35
	v_fmac_f32_e32 v5, v4, v32
	v_sub_f32_e32 v32, v2, v0
	v_dual_fmac_f32 v13, v40, v12 :: v_dual_sub_f32 v40, v11, v15
	s_delay_alu instid0(VALU_DEP_4)
	v_fmac_f32_e32 v9, v8, v36
	v_fmac_f32_e32 v22, v44, v21
	v_fma_f32 v4, v8, v35, -v47
	v_add_f32_e32 v19, v2, v6
	v_sub_f32_e32 v29, v0, v2
	v_sub_f32_e32 v36, v2, v6
	v_add_f32_e32 v50, v27, v5
	v_add_f32_e32 v2, v14, v2
	v_sub_f32_e32 v54, v22, v13
	v_sub_f32_e32 v44, v9, v13
	;; [unrolled: 1-line block ×3, first 2 shown]
	v_fma_f32 v8, v39, v12, -v49
	v_fma_f32 v12, v43, v21, -v51
	v_sub_f32_e32 v48, v4, v1
	v_fma_f32 v19, -0.5, v19, v16
	v_sub_f32_e32 v45, v1, v4
	v_sub_f32_e32 v52, v4, v8
	v_dual_sub_f32 v46, v12, v8 :: v_dual_sub_f32 v21, v3, v15
	v_add_f32_e32 v41, v18, v1
	v_add_f32_e32 v31, v0, v10
	v_dual_add_f32 v42, v4, v8 :: v_dual_add_f32 v35, v7, v11
	v_dual_sub_f32 v56, v13, v22 :: v_dual_sub_f32 v49, v8, v12
	s_delay_alu instid0(VALU_DEP_4) | instskip(NEXT) | instid1(VALU_DEP_4)
	v_dual_add_f32 v39, v3, v15 :: v_dual_add_f32 v4, v41, v4
	v_fma_f32 v16, -0.5, v31, v16
	v_dual_sub_f32 v37, v3, v7 :: v_dual_add_f32 v14, v29, v30
	v_dual_sub_f32 v3, v7, v3 :: v_dual_add_f32 v2, v2, v6
	v_add_f32_e32 v7, v34, v7
	v_fma_f32 v30, -0.5, v35, v17
	v_add_f32_e32 v34, v48, v49
	v_fma_f32 v17, -0.5, v39, v17
	v_fmamk_f32 v39, v26, 0xbf737871, v16
	v_dual_fmac_f32 v16, 0x3f737871, v26 :: v_dual_add_f32 v47, v1, v12
	v_dual_sub_f32 v0, v0, v10 :: v_dual_add_f32 v51, v9, v13
	v_dual_sub_f32 v53, v5, v9 :: v_dual_add_f32 v4, v4, v8
	s_delay_alu instid0(VALU_DEP_3)
	v_dual_fmac_f32 v16, 0xbf167918, v21 :: v_dual_sub_f32 v43, v5, v22
	v_dual_add_f32 v3, v3, v40 :: v_dual_fmamk_f32 v40, v36, 0x3f737871, v17
	v_dual_sub_f32 v33, v6, v10 :: v_dual_add_f32 v6, v7, v11
	v_add_f32_e32 v31, v37, v38
	v_fmamk_f32 v38, v21, 0x3f737871, v19
	v_dual_add_f32 v37, v53, v54 :: v_dual_add_f32 v4, v4, v12
	s_delay_alu instid0(VALU_DEP_4) | instskip(SKIP_1) | instid1(VALU_DEP_4)
	v_add_f32_e32 v29, v32, v33
	v_fma_f32 v32, -0.5, v42, v18
	v_fmac_f32_e32 v38, 0x3f167918, v26
	v_dual_fmac_f32 v18, -0.5, v47 :: v_dual_add_f32 v55, v5, v22
	v_dual_sub_f32 v5, v9, v5 :: v_dual_add_f32 v2, v2, v10
	v_dual_add_f32 v9, v50, v9 :: v_dual_fmac_f32 v40, 0xbf167918, v0
	v_sub_f32_e32 v1, v1, v12
	v_fmamk_f32 v11, v0, 0xbf737871, v30
	v_fmac_f32_e32 v30, 0x3f737871, v0
	v_fma_f32 v35, -0.5, v51, v27
	v_fmamk_f32 v8, v43, 0x3f737871, v32
	v_dual_fmac_f32 v32, 0xbf737871, v43 :: v_dual_add_f32 v7, v9, v13
	v_fmamk_f32 v41, v44, 0xbf737871, v18
	v_fmac_f32_e32 v18, 0x3f737871, v44
	v_fmac_f32_e32 v16, 0x3e9e377a, v29
	v_fmamk_f32 v9, v1, 0xbf737871, v35
	v_dual_fmac_f32 v32, 0xbf167918, v44 :: v_dual_add_f32 v7, v7, v22
	v_dual_fmac_f32 v27, -0.5, v55 :: v_dual_fmac_f32 v8, 0x3f167918, v44
	s_delay_alu instid0(VALU_DEP_3) | instskip(SKIP_1) | instid1(VALU_DEP_3)
	v_dual_fmac_f32 v18, 0xbf167918, v43 :: v_dual_fmac_f32 v9, 0xbf167918, v52
	v_dual_add_f32 v33, v45, v46 :: v_dual_fmac_f32 v30, 0x3f167918, v36
	v_fmamk_f32 v13, v52, 0x3f737871, v27
	v_dual_fmac_f32 v27, 0xbf737871, v52 :: v_dual_add_f32 v10, v6, v15
	s_delay_alu instid0(VALU_DEP_4)
	v_dual_fmac_f32 v18, 0x3e9e377a, v34 :: v_dual_fmac_f32 v9, 0x3e9e377a, v37
	v_dual_add_f32 v5, v5, v56 :: v_dual_fmac_f32 v38, 0x3e9e377a, v14
	v_fmac_f32_e32 v35, 0x3f737871, v1
	v_fmac_f32_e32 v41, 0x3f167918, v43
	;; [unrolled: 1-line block ×4, first 2 shown]
	v_add_f32_e32 v1, v10, v7
	v_dual_sub_f32 v7, v10, v7 :: v_dual_mul_f32 v10, 0x3f167918, v9
	v_dual_fmac_f32 v8, 0x3e9e377a, v33 :: v_dual_fmac_f32 v41, 0x3e9e377a, v34
	v_fmac_f32_e32 v19, 0xbf737871, v21
	v_dual_fmac_f32 v27, 0x3e9e377a, v5 :: v_dual_sub_f32 v6, v2, v4
	s_delay_alu instid0(VALU_DEP_3) | instskip(SKIP_3) | instid1(VALU_DEP_4)
	v_fmac_f32_e32 v10, 0x3f4f1bbd, v8
	v_fmac_f32_e32 v17, 0xbf737871, v36
	v_mul_f32_e32 v22, 0xbf167918, v8
	v_fmac_f32_e32 v32, 0x3e9e377a, v33
	v_dual_fmac_f32 v13, 0x3e9e377a, v5 :: v_dual_sub_f32 v8, v38, v10
	s_delay_alu instid0(VALU_DEP_4) | instskip(SKIP_4) | instid1(VALU_DEP_4)
	v_fmac_f32_e32 v17, 0x3f167918, v0
	v_fmac_f32_e32 v35, 0x3f167918, v52
	v_add_f32_e32 v0, v2, v4
	v_mul_f32_e32 v4, 0x3e9e377a, v27
	v_fmac_f32_e32 v19, 0xbf167918, v26
	v_dual_mul_f32 v2, 0x3e9e377a, v18 :: v_dual_fmac_f32 v35, 0x3e9e377a, v37
	v_fmac_f32_e32 v17, 0x3e9e377a, v3
	v_mul_f32_e32 v26, 0xbf737871, v41
	s_delay_alu instid0(VALU_DEP_4) | instskip(NEXT) | instid1(VALU_DEP_4)
	v_dual_fmac_f32 v19, 0x3e9e377a, v14 :: v_dual_fmac_f32 v30, 0x3e9e377a, v31
	v_fma_f32 v27, 0x3f737871, v27, -v2
	v_fmac_f32_e32 v39, 0x3f167918, v21
	v_fmac_f32_e32 v40, 0x3e9e377a, v3
	v_mul_f32_e32 v3, 0x3f4f1bbd, v32
	s_delay_alu instid0(VALU_DEP_4) | instskip(NEXT) | instid1(VALU_DEP_4)
	v_dual_mul_f32 v21, 0x3f737871, v13 :: v_dual_add_f32 v14, v16, v27
	v_dual_sub_f32 v16, v16, v27 :: v_dual_fmac_f32 v39, 0x3e9e377a, v29
	v_mul_f32_e32 v5, 0x3f4f1bbd, v35
	s_delay_alu instid0(VALU_DEP_4)
	v_fma_f32 v29, 0x3f167918, v35, -v3
	v_fmac_f32_e32 v11, 0xbf167918, v36
	v_fmac_f32_e32 v21, 0x3e9e377a, v41
	;; [unrolled: 1-line block ×4, first 2 shown]
	v_fma_f32 v32, 0xbf167918, v32, -v5
	v_fmac_f32_e32 v11, 0x3e9e377a, v31
	v_fma_f32 v31, 0xbf737871, v18, -v4
	v_add_f32_e32 v2, v38, v10
	v_add_f32_e32 v12, v39, v21
	;; [unrolled: 1-line block ×6, first 2 shown]
	v_dual_add_f32 v5, v30, v32 :: v_dual_sub_f32 v10, v39, v21
	v_sub_f32_e32 v18, v19, v29
	v_sub_f32_e32 v9, v11, v22
	;; [unrolled: 1-line block ×5, first 2 shown]
	ds_store_2addr_b64 v23, v[0:1], v[2:3] offset1:10
	ds_store_2addr_b64 v23, v[12:13], v[14:15] offset0:20 offset1:30
	ds_store_2addr_b64 v23, v[4:5], v[6:7] offset0:40 offset1:50
	;; [unrolled: 1-line block ×4, first 2 shown]
	global_wb scope:SCOPE_SE
	s_wait_dscnt 0x0
	s_barrier_signal -1
	s_barrier_wait -1
	global_inv scope:SCOPE_SE
                                        ; implicit-def: $vgpr27
                                        ; implicit-def: $vgpr23
	s_and_saveexec_b32 s1, s0
	s_cbranch_execnz .LBB0_14
; %bb.12:
	s_wait_alu 0xfffe
	s_or_b32 exec_lo, exec_lo, s1
	s_and_b32 s0, vcc_lo, s0
	s_wait_alu 0xfffe
	s_and_saveexec_b32 s1, s0
	s_cbranch_execnz .LBB0_15
.LBB0_13:
	s_endpgm
.LBB0_14:
	v_mul_i32_i24_e32 v0, 0xffffffb8, v28
	s_delay_alu instid0(VALU_DEP_1) | instskip(NEXT) | instid1(VALU_DEP_1)
	v_add_nc_u32_e32 v26, v20, v0
	v_add_nc_u32_e32 v4, 0x400, v26
	;; [unrolled: 1-line block ×6, first 2 shown]
	ds_load_2addr_b64 v[0:3], v26 offset1:100
	ds_load_2addr_b64 v[12:15], v4 offset0:72 offset1:172
	ds_load_2addr_b64 v[4:7], v5 offset0:144 offset1:244
	;; [unrolled: 1-line block ×5, first 2 shown]
	ds_load_b64 v[26:27], v26 offset:9600
	s_wait_alu 0xfffe
	s_or_b32 exec_lo, exec_lo, s1
	s_and_b32 s0, vcc_lo, s0
	s_wait_alu 0xfffe
	s_and_saveexec_b32 s1, s0
	s_cbranch_execz .LBB0_13
.LBB0_15:
	v_mul_u32_u24_e32 v29, 12, v28
	s_delay_alu instid0(VALU_DEP_1)
	v_lshlrev_b32_e32 v29, 3, v29
	s_clause 0x5
	global_load_b128 v[39:42], v29, s[4:5] offset:720
	global_load_b128 v[43:46], v29, s[4:5] offset:800
	;; [unrolled: 1-line block ×6, first 2 shown]
	s_wait_loadcnt_dscnt 0x506
	v_mul_f32_e32 v63, v3, v40
	s_wait_loadcnt_dscnt 0x400
	v_mul_f32_e32 v64, v27, v46
	v_mul_f32_e32 v29, v26, v46
	s_wait_loadcnt 0x2
	v_dual_mul_f32 v40, v2, v40 :: v_dual_mul_f32 v31, v20, v54
	v_dual_mul_f32 v46, v13, v42 :: v_dual_mul_f32 v65, v23, v44
	v_mul_f32_e32 v72, v12, v42
	s_wait_loadcnt 0x0
	v_dual_mul_f32 v30, v22, v44 :: v_dual_mul_f32 v33, v16, v62
	v_mul_f32_e32 v42, v15, v48
	v_dual_mul_f32 v44, v21, v54 :: v_dual_mul_f32 v37, v14, v48
	v_dual_mul_f32 v54, v5, v50 :: v_dual_fmac_f32 v29, v27, v45
	v_dual_mul_f32 v66, v19, v52 :: v_dual_mul_f32 v35, v8, v58
	v_dual_mul_f32 v32, v18, v52 :: v_dual_fmac_f32 v31, v21, v53
	s_delay_alu instid0(VALU_DEP_4) | instskip(NEXT) | instid1(VALU_DEP_3)
	v_dual_mul_f32 v38, v4, v50 :: v_dual_fmac_f32 v37, v15, v47
	v_dual_mul_f32 v36, v6, v56 :: v_dual_fmac_f32 v35, v9, v57
	v_fma_f32 v48, v14, v47, -v42
	v_fma_f32 v47, v4, v49, -v54
	v_fma_f32 v15, v18, v51, -v66
	v_fmac_f32_e32 v72, v13, v41
	v_fmac_f32_e32 v32, v19, v51
	;; [unrolled: 1-line block ×3, first 2 shown]
	v_dual_mul_f32 v50, v7, v56 :: v_dual_fmac_f32 v33, v17, v61
	v_mul_f32_e32 v56, v9, v58
	v_fma_f32 v63, v2, v39, -v63
	v_fma_f32 v26, v26, v45, -v64
	v_mul_f32_e32 v34, v10, v60
	v_fmac_f32_e32 v40, v3, v39
	v_fma_f32 v73, v12, v41, -v46
	v_fma_f32 v22, v22, v43, -v65
	v_dual_fmac_f32 v36, v7, v55 :: v_dual_add_f32 v7, v38, v32
	s_delay_alu instid0(VALU_DEP_4) | instskip(SKIP_3) | instid1(VALU_DEP_4)
	v_dual_mul_f32 v52, v17, v62 :: v_dual_add_f32 v13, v40, v29
	v_mul_f32_e32 v62, v11, v60
	v_fma_f32 v14, v20, v53, -v44
	v_sub_f32_e32 v49, v63, v26
	v_fma_f32 v16, v16, v61, -v52
	v_sub_f32_e32 v61, v47, v15
	v_fma_f32 v18, v8, v57, -v56
	v_fmac_f32_e32 v34, v11, v59
	v_add_f32_e32 v11, v37, v31
	v_fma_f32 v17, v10, v59, -v62
	v_dual_fmac_f32 v30, v23, v43 :: v_dual_sub_f32 v85, v40, v29
	v_fma_f32 v23, v6, v55, -v50
	v_dual_sub_f32 v50, v73, v22 :: v_dual_mul_f32 v105, 0xbe750f2a, v49
	v_dual_sub_f32 v66, v48, v14 :: v_dual_mul_f32 v83, 0x3f52af12, v61
	v_sub_f32_e32 v55, v18, v17
	v_add_f32_e32 v9, v73, v22
	v_dual_add_f32 v5, v47, v15 :: v_dual_add_f32 v12, v72, v30
	v_add_f32_e32 v51, v1, v40
	v_sub_f32_e32 v87, v72, v30
	v_dual_add_f32 v10, v63, v26 :: v_dual_add_f32 v3, v18, v17
	v_dual_add_f32 v6, v36, v33 :: v_dual_sub_f32 v59, v35, v34
	v_dual_mul_f32 v94, 0xbe750f2a, v85 :: v_dual_mul_f32 v107, 0xbe750f2a, v50
	v_sub_f32_e32 v62, v38, v32
	v_sub_f32_e32 v70, v37, v31
	v_dual_add_f32 v52, v0, v63 :: v_dual_mul_f32 v103, 0xbf29c268, v49
	v_dual_mul_f32 v86, 0xbf29c268, v66 :: v_dual_mul_f32 v19, 0xbf29c268, v59
	v_mul_f32_e32 v93, 0x3eedf032, v87
	v_dual_mul_f32 v97, 0x3f7e222b, v87 :: v_dual_add_f32 v108, v51, v72
	v_dual_mul_f32 v43, 0xbf6f5d39, v59 :: v_dual_mul_f32 v104, 0xbf6f5d39, v49
	v_fma_f32 v114, 0xbf788fa5, v10, -v94
	v_dual_sub_f32 v58, v23, v16 :: v_dual_mul_f32 v101, 0x3eedf032, v50
	v_dual_sub_f32 v60, v36, v33 :: v_dual_mul_f32 v99, 0x3f7e222b, v50
	v_mul_f32_e32 v65, 0x3f52af12, v62
	v_dual_mul_f32 v88, 0xbf52af12, v66 :: v_dual_add_f32 v109, v52, v73
	v_dual_mul_f32 v78, 0xbf52af12, v70 :: v_dual_mul_f32 v57, 0xbf52af12, v49
	v_dual_mul_f32 v100, 0x3f29c268, v50 :: v_dual_mul_f32 v95, 0x3f29c268, v87
	v_dual_mul_f32 v90, 0x3eedf032, v66 :: v_dual_add_f32 v37, v108, v37
	v_dual_mul_f32 v45, 0xbe750f2a, v87 :: v_dual_add_f32 v114, v0, v114
	v_dual_fmamk_f32 v113, v11, 0xbf3f9e67, v86 :: v_dual_fmamk_f32 v116, v13, 0xbf3f9e67, v103
	v_fma_f32 v115, 0x3f62ad3f, v9, -v93
	v_fmamk_f32 v135, v13, 0xbeb58ec6, v104
	v_fmac_f32_e32 v94, 0xbf788fa5, v10
	v_dual_add_f32 v8, v48, v14 :: v_dual_mul_f32 v63, 0xbf6f5d39, v60
	v_dual_mul_f32 v82, 0x3eedf032, v58 :: v_dual_mul_f32 v111, 0x3eedf032, v55
	v_dual_mul_f32 v98, 0xbf6f5d39, v85 :: v_dual_mul_f32 v51, 0xbf6f5d39, v87
	v_dual_mul_f32 v76, 0x3f52af12, v55 :: v_dual_add_f32 v37, v37, v38
	v_dual_mul_f32 v21, 0x3f52af12, v59 :: v_dual_add_f32 v48, v109, v48
	v_dual_mul_f32 v77, 0xbf7e222b, v85 :: v_dual_mul_f32 v72, 0xbf7e222b, v66
	v_dual_mul_f32 v79, 0x3f6f5d39, v66 :: v_dual_add_f32 v116, v1, v116
	v_dual_mul_f32 v41, 0x3f6f5d39, v70 :: v_dual_add_f32 v114, v114, v115
	;; [unrolled: 1-line block ×3, first 2 shown]
	v_fma_f32 v119, 0x3df6dbef, v9, -v97
	v_dual_fmamk_f32 v122, v11, 0x3f116cb1, v88 :: v_dual_fmamk_f32 v115, v13, 0x3f116cb1, v57
	v_mul_f32_e32 v56, 0xbf6f5d39, v50
	v_fmamk_f32 v137, v12, 0xbf3f9e67, v100
	v_dual_add_f32 v94, v0, v94 :: v_dual_fmac_f32 v97, 0x3df6dbef, v9
	v_fmamk_f32 v38, v12, 0xbf788fa5, v107
	v_dual_fmamk_f32 v117, v12, 0x3df6dbef, v99 :: v_dual_add_f32 v2, v35, v34
	v_dual_mul_f32 v69, 0x3f7e222b, v55 :: v_dual_add_f32 v4, v23, v16
	v_mul_f32_e32 v27, 0x3f7e222b, v59
	v_dual_mul_f32 v74, 0xbf6f5d39, v58 :: v_dual_mul_f32 v71, 0xbf6f5d39, v55
	v_mul_f32_e32 v81, 0xbf29c268, v70
	v_dual_mul_f32 v84, 0x3e750f2a, v61 :: v_dual_mul_f32 v67, 0x3e750f2a, v62
	;; [unrolled: 2-line block ×3, first 2 shown]
	v_dual_mul_f32 v80, 0x3eedf032, v70 :: v_dual_add_f32 v47, v48, v47
	v_dual_mul_f32 v89, 0xbf7e222b, v61 :: v_dual_mul_f32 v68, 0xbf7e222b, v62
	v_dual_mul_f32 v75, 0x3e750f2a, v58 :: v_dual_mul_f32 v44, 0x3e750f2a, v60
	v_mul_f32_e32 v42, 0xbf52af12, v58
	v_dual_mul_f32 v20, 0xbf52af12, v60 :: v_dual_add_f32 v135, v135, v137
	v_mul_f32_e32 v40, 0xbf29c268, v55
	v_mul_f32_e32 v54, 0xbf52af12, v85
	;; [unrolled: 1-line block ×3, first 2 shown]
	v_dual_mul_f32 v73, 0xbe750f2a, v70 :: v_dual_add_f32 v116, v116, v117
	v_mul_f32_e32 v91, 0x3f29c268, v61
	v_mul_f32_e32 v110, 0x3f7e222b, v58
	;; [unrolled: 1-line block ×3, first 2 shown]
	v_fmamk_f32 v112, v12, 0x3f62ad3f, v101
	v_mul_f32_e32 v106, 0xbf7e222b, v49
	v_mul_f32_e32 v49, 0xbf52af12, v87
	;; [unrolled: 1-line block ×3, first 2 shown]
	v_dual_fmamk_f32 v130, v6, 0x3f62ad3f, v82 :: v_dual_fmac_f32 v93, 0x3f62ad3f, v9
	v_mul_f32_e32 v96, 0x3eedf032, v59
	v_fma_f32 v136, 0xbeb58ec6, v10, -v98
	v_fma_f32 v48, 0x3df6dbef, v10, -v77
	;; [unrolled: 1-line block ×3, first 2 shown]
	v_dual_add_f32 v93, v94, v93 :: v_dual_mul_f32 v66, 0xbf7e222b, v70
	v_dual_mul_f32 v70, 0xbf6f5d39, v61 :: v_dual_mul_f32 v61, 0xbf6f5d39, v62
	v_add_f32_e32 v115, v1, v115
	v_dual_fmamk_f32 v117, v12, 0xbeb58ec6, v56 :: v_dual_add_f32 v36, v37, v36
	v_mul_f32_e32 v52, 0xbf52af12, v50
	v_dual_mul_f32 v50, 0xbeedf032, v85 :: v_dual_add_f32 v23, v47, v23
	v_dual_mul_f32 v85, 0x3f29c268, v62 :: v_dual_add_f32 v136, v0, v136
	v_fma_f32 v101, 0x3f62ad3f, v12, -v101
	v_mul_f32_e32 v62, 0xbf29c268, v58
	v_fma_f32 v103, 0xbf3f9e67, v13, -v103
	v_mul_f32_e32 v58, 0xbf29c268, v60
	v_mul_f32_e32 v60, 0xbe750f2a, v55
	v_dual_mul_f32 v55, 0xbe750f2a, v59 :: v_dual_add_f32 v48, v0, v48
	v_dual_fmamk_f32 v59, v13, 0xbf788fa5, v105 :: v_dual_fmamk_f32 v126, v7, 0xbf788fa5, v84
	v_fma_f32 v104, 0xbeb58ec6, v13, -v104
	v_fma_f32 v108, 0xbf3f9e67, v9, -v95
	v_add_f32_e32 v115, v115, v117
	s_delay_alu instid0(VALU_DEP_4) | instskip(SKIP_4) | instid1(VALU_DEP_4)
	v_add_f32_e32 v59, v1, v59
	v_fma_f32 v118, 0xbf3f9e67, v10, -v102
	v_dual_fmac_f32 v102, 0xbf3f9e67, v10 :: v_dual_fmac_f32 v95, 0xbf3f9e67, v9
	v_add_f32_e32 v104, v1, v104
	v_fma_f32 v121, 0xbf3f9e67, v8, -v81
	v_dual_add_f32 v118, v0, v118 :: v_dual_fmamk_f32 v133, v2, 0xbeb58ec6, v71
	v_add_f32_e32 v108, v136, v108
	v_dual_add_f32 v102, v0, v102 :: v_dual_fmac_f32 v81, 0xbf3f9e67, v8
	s_delay_alu instid0(VALU_DEP_3)
	v_add_f32_e32 v118, v118, v119
	v_fma_f32 v119, 0x3f116cb1, v10, -v54
	v_fmamk_f32 v120, v7, 0x3f116cb1, v83
	v_fma_f32 v123, 0x3f116cb1, v8, -v78
	v_fma_f32 v125, 0x3f116cb1, v5, -v65
	;; [unrolled: 1-line block ×3, first 2 shown]
	v_add_f32_e32 v119, v0, v119
	v_fma_f32 v99, 0x3df6dbef, v12, -v99
	v_add_f32_e32 v103, v1, v103
	v_fma_f32 v100, 0xbf3f9e67, v12, -v100
	v_dual_add_f32 v116, v116, v122 :: v_dual_fmac_f32 v65, 0x3f116cb1, v5
	v_add_f32_e32 v119, v119, v137
	v_fmamk_f32 v137, v11, 0x3f62ad3f, v90
	v_dual_add_f32 v59, v59, v112 :: v_dual_fmamk_f32 v128, v2, 0x3df6dbef, v69
	v_fmamk_f32 v109, v13, 0x3df6dbef, v106
	s_delay_alu instid0(VALU_DEP_3)
	v_dual_fmamk_f32 v94, v2, 0x3f116cb1, v76 :: v_dual_add_f32 v135, v135, v137
	v_fmamk_f32 v137, v11, 0xbf788fa5, v87
	v_fmac_f32_e32 v98, 0xbeb58ec6, v10
	v_fma_f32 v112, 0xbf788fa5, v9, -v45
	v_add_f32_e32 v109, v1, v109
	v_fma_f32 v106, 0x3df6dbef, v13, -v106
	s_delay_alu instid0(VALU_DEP_4) | instskip(SKIP_4) | instid1(VALU_DEP_4)
	v_dual_add_f32 v115, v115, v137 :: v_dual_add_f32 v98, v0, v98
	v_fmamk_f32 v136, v13, 0x3f62ad3f, v53
	v_add_f32_e32 v48, v48, v112
	v_fma_f32 v112, 0x3f62ad3f, v10, -v50
	v_add_f32_e32 v59, v59, v113
	v_dual_add_f32 v95, v98, v95 :: v_dual_add_f32 v136, v1, v136
	v_dual_fmamk_f32 v98, v7, 0x3f62ad3f, v46 :: v_dual_add_f32 v81, v93, v81
	v_fmamk_f32 v113, v6, 0x3f116cb1, v42
	v_dual_add_f32 v97, v102, v97 :: v_dual_add_f32 v38, v109, v38
	v_fmamk_f32 v109, v12, 0x3f116cb1, v52
	v_dual_fmamk_f32 v102, v11, 0xbeb58ec6, v79 :: v_dual_add_f32 v35, v36, v35
	v_dual_fmamk_f32 v124, v6, 0xbeb58ec6, v74 :: v_dual_add_f32 v99, v103, v99
	v_fma_f32 v129, 0xbeb58ec6, v4, -v63
	v_fma_f32 v117, 0x3f116cb1, v9, -v49
	v_add_f32_e32 v112, v0, v112
	v_add_f32_e32 v109, v136, v109
	v_fma_f32 v136, 0x3f62ad3f, v8, -v80
	v_add_f32_e32 v105, v1, v105
	v_fma_f32 v107, 0xbf788fa5, v12, -v107
	v_dual_add_f32 v106, v1, v106 :: v_dual_fmamk_f32 v137, v7, 0xbf3f9e67, v91
	v_add_f32_e32 v100, v104, v100
	v_fma_f32 v104, 0xbeb58ec6, v8, -v41
	v_dual_add_f32 v114, v114, v121 :: v_dual_fmac_f32 v63, 0xbeb58ec6, v4
	v_add_f32_e32 v118, v118, v123
	v_fma_f32 v123, 0xbf3f9e67, v3, -v19
	v_fma_f32 v88, 0x3f116cb1, v11, -v88
	v_add_f32_e32 v18, v23, v18
	v_dual_add_f32 v34, v35, v34 :: v_dual_add_f32 v35, v81, v65
	v_dual_add_f32 v112, v112, v117 :: v_dual_fmamk_f32 v47, v6, 0xbf788fa5, v75
	v_fmamk_f32 v117, v7, 0x3df6dbef, v89
	v_fma_f32 v37, 0x3df6dbef, v5, -v68
	v_dual_add_f32 v101, v105, v101 :: v_dual_add_f32 v108, v108, v136
	v_fma_f32 v136, 0xbf788fa5, v8, -v73
	v_add_f32_e32 v106, v106, v107
	v_fma_f32 v107, 0x3f62ad3f, v5, -v39
	v_add_f32_e32 v48, v48, v104
	v_fma_f32 v86, 0xbf3f9e67, v11, -v86
	v_dual_fmac_f32 v78, 0x3f116cb1, v8 :: v_dual_add_f32 v117, v135, v117
	v_fma_f32 v84, 0xbf788fa5, v7, -v84
	v_dual_add_f32 v116, v116, v126 :: v_dual_add_f32 v63, v35, v63
	v_add_f32_e32 v88, v99, v88
	v_fma_f32 v105, 0xbf788fa5, v4, -v44
	v_fma_f32 v121, 0x3f116cb1, v4, -v20
	s_delay_alu instid0(VALU_DEP_4)
	v_add_f32_e32 v81, v116, v130
	v_add_f32_e32 v38, v38, v102
	v_dual_fmamk_f32 v102, v11, 0x3df6dbef, v72 :: v_dual_fmac_f32 v77, 0x3df6dbef, v10
	v_fma_f32 v104, 0x3df6dbef, v8, -v66
	v_fma_f32 v90, 0x3f62ad3f, v11, -v90
	v_dual_add_f32 v86, v101, v86 :: v_dual_add_f32 v17, v18, v17
	v_fmamk_f32 v101, v6, 0xbf3f9e67, v62
	v_dual_fmac_f32 v80, 0x3f62ad3f, v8 :: v_dual_add_f32 v37, v108, v37
	v_fma_f32 v82, 0x3f62ad3f, v6, -v82
	v_dual_fmamk_f32 v99, v2, 0x3f62ad3f, v111 :: v_dual_add_f32 v78, v97, v78
	v_add_f32_e32 v65, v88, v84
	v_add_f32_e32 v48, v48, v107
	v_fma_f32 v127, 0xbf788fa5, v5, -v67
	v_fma_f32 v103, 0x3f116cb1, v3, -v21
	v_dual_add_f32 v102, v109, v102 :: v_dual_fmamk_f32 v109, v7, 0xbeb58ec6, v70
	v_dual_add_f32 v104, v112, v104 :: v_dual_fmac_f32 v45, 0xbf788fa5, v9
	v_fma_f32 v112, 0xbeb58ec6, v5, -v61
	v_fmac_f32_e32 v67, 0xbf788fa5, v5
	v_fma_f32 v89, 0x3df6dbef, v7, -v89
	v_dual_fmac_f32 v68, 0x3df6dbef, v5 :: v_dual_add_f32 v59, v59, v120
	v_add_f32_e32 v90, v100, v90
	v_dual_fmamk_f32 v100, v2, 0xbf788fa5, v60 :: v_dual_add_f32 v47, v117, v47
	v_dual_fmac_f32 v44, 0xbf788fa5, v4 :: v_dual_add_f32 v37, v37, v105
	v_dual_add_f32 v65, v65, v82 :: v_dual_add_f32 v48, v48, v121
	v_fma_f32 v131, 0x3f62ad3f, v4, -v64
	v_fma_f32 v83, 0x3f116cb1, v7, -v83
	v_dual_fmac_f32 v64, 0x3f62ad3f, v4 :: v_dual_add_f32 v67, v78, v67
	v_dual_add_f32 v104, v104, v112 :: v_dual_add_f32 v35, v37, v103
	v_dual_add_f32 v59, v59, v124 :: v_dual_add_f32 v78, v90, v89
	v_dual_add_f32 v90, v16, v17 :: v_dual_fmac_f32 v41, 0xbeb58ec6, v8
	v_add_f32_e32 v37, v48, v123
	v_dual_add_f32 v118, v118, v127 :: v_dual_add_f32 v89, v33, v34
	s_delay_alu instid0(VALU_DEP_3) | instskip(SKIP_2) | instid1(VALU_DEP_4)
	v_dual_add_f32 v18, v86, v83 :: v_dual_add_f32 v15, v15, v90
	v_add_f32_e32 v119, v119, v136
	v_fma_f32 v136, 0xbf3f9e67, v5, -v85
	v_add_f32_e32 v32, v32, v89
	v_fmamk_f32 v36, v6, 0x3df6dbef, v110
	v_fma_f32 v23, 0x3df6dbef, v4, -v92
	v_fma_f32 v74, 0xbeb58ec6, v6, -v74
	v_add_f32_e32 v107, v119, v136
	v_dual_add_f32 v31, v31, v32 :: v_dual_add_f32 v32, v14, v15
	v_fmac_f32_e32 v51, 0xbeb58ec6, v9
	v_fma_f32 v132, 0x3df6dbef, v3, -v27
	v_fma_f32 v97, 0x3f62ad3f, v3, -v96
	v_dual_add_f32 v80, v95, v80 :: v_dual_add_f32 v83, v118, v131
	v_add_f32_e32 v32, v22, v32
	v_fma_f32 v69, 0x3df6dbef, v2, -v69
	v_fmac_f32_e32 v27, 0x3df6dbef, v3
	v_fma_f32 v75, 0xbf788fa5, v6, -v75
	v_dual_add_f32 v114, v114, v125 :: v_dual_add_f32 v23, v107, v23
	v_dual_add_f32 v38, v38, v98 :: v_dual_add_f32 v17, v59, v128
	v_add_f32_e32 v98, v115, v137
	v_add_f32_e32 v26, v26, v32
	v_fma_f32 v32, 0x3f62ad3f, v7, -v46
	v_add_f32_e32 v18, v18, v74
	v_dual_fmamk_f32 v122, v2, 0xbf3f9e67, v40 :: v_dual_add_f32 v77, v0, v77
	v_fma_f32 v93, 0xbf3f9e67, v4, -v58
	v_fma_f32 v79, 0xbeb58ec6, v11, -v79
	v_add_f32_e32 v68, v80, v68
	v_dual_add_f32 v64, v67, v64 :: v_dual_add_f32 v67, v78, v75
	v_dual_add_f32 v84, v98, v36 :: v_dual_fmac_f32 v21, 0x3f116cb1, v3
	v_add_f32_e32 v36, v47, v94
	v_add_f32_e32 v47, v23, v97
	;; [unrolled: 1-line block ×4, first 2 shown]
	v_fma_f32 v71, 0xbeb58ec6, v2, -v71
	v_add_f32_e32 v80, v114, v129
	v_add_f32_e32 v38, v38, v113
	;; [unrolled: 1-line block ×3, first 2 shown]
	v_dual_add_f32 v22, v63, v27 :: v_dual_fmac_f32 v85, 0xbf3f9e67, v5
	v_dual_add_f32 v27, v29, v18 :: v_dual_add_f32 v18, v68, v44
	v_dual_add_f32 v29, v106, v79 :: v_dual_fmac_f32 v92, 0x3df6dbef, v4
	v_add_f32_e32 v44, v77, v45
	v_fma_f32 v45, 0x3f116cb1, v13, -v57
	v_fma_f32 v13, 0x3f62ad3f, v13, -v53
	;; [unrolled: 1-line block ×3, first 2 shown]
	v_fmac_f32_e32 v43, 0xbeb58ec6, v3
	v_dual_add_f32 v31, v65, v71 :: v_dual_add_f32 v16, v80, v132
	v_fmac_f32_e32 v39, 0x3f62ad3f, v5
	v_add_f32_e32 v29, v29, v32
	v_fma_f32 v32, 0x3f116cb1, v6, -v42
	v_add_f32_e32 v41, v44, v41
	v_fma_f32 v44, 0xbeb58ec6, v12, -v56
	v_fma_f32 v12, 0x3f116cb1, v12, -v52
	v_fmac_f32_e32 v66, 0x3df6dbef, v8
	v_add_f32_e32 v42, v1, v45
	v_dual_add_f32 v1, v1, v13 :: v_dual_add_f32 v38, v38, v122
	v_dual_add_f32 v29, v29, v32 :: v_dual_add_f32 v30, v64, v43
	v_fma_f32 v32, 0xbf3f9e67, v2, -v40
	s_delay_alu instid0(VALU_DEP_3)
	v_add_f32_e32 v1, v1, v12
	v_dual_add_f32 v39, v41, v39 :: v_dual_fmac_f32 v20, 0x3f116cb1, v4
	v_dual_fmac_f32 v49, 0x3f116cb1, v9 :: v_dual_add_f32 v40, v42, v44
	v_fmac_f32_e32 v61, 0xbeb58ec6, v5
	v_fma_f32 v41, 0xbf788fa5, v11, -v87
	v_fma_f32 v11, 0x3df6dbef, v11, -v72
	v_dual_add_f32 v34, v81, v133 :: v_dual_fmac_f32 v19, 0xbf3f9e67, v3
	v_add_f32_e32 v48, v84, v99
	v_fma_f32 v12, 0x3f62ad3f, v2, -v111
	s_delay_alu instid0(VALU_DEP_4)
	v_dual_add_f32 v1, v1, v11 :: v_dual_add_f32 v42, v18, v21
	v_add_f32_e32 v21, v29, v32
	v_add_f32_e32 v18, v39, v20
	;; [unrolled: 1-line block ×3, first 2 shown]
	v_fma_f32 v29, 0xbf3f9e67, v7, -v91
	v_fma_f32 v95, 0xbf788fa5, v3, -v55
	v_fmac_f32_e32 v54, 0x3f116cb1, v10
	v_fmac_f32_e32 v55, 0xbf788fa5, v3
	s_delay_alu instid0(VALU_DEP_4) | instskip(SKIP_4) | instid1(VALU_DEP_4)
	v_dual_fmac_f32 v58, 0xbf3f9e67, v4 :: v_dual_add_f32 v29, v20, v29
	v_dual_add_f32 v20, v18, v19 :: v_dual_add_nc_u32 v19, 0xc8, v28
	v_dual_add_f32 v14, v88, v95 :: v_dual_fmac_f32 v73, 0xbf788fa5, v8
	v_fma_f32 v39, 0x3df6dbef, v6, -v110
	v_fmac_f32_e32 v50, 0x3f62ad3f, v10
	v_mad_co_u64_u32 v[4:5], null, s8, v19, 0
	s_delay_alu instid0(VALU_DEP_3) | instskip(SKIP_1) | instid1(VALU_DEP_4)
	v_dual_add_f32 v32, v0, v54 :: v_dual_add_f32 v13, v29, v39
	v_fma_f32 v7, 0xbeb58ec6, v7, -v70
	v_add_f32_e32 v0, v0, v50
	v_fmac_f32_e32 v96, 0x3f62ad3f, v3
	s_delay_alu instid0(VALU_DEP_4) | instskip(SKIP_3) | instid1(VALU_DEP_4)
	v_dual_add_f32 v32, v32, v51 :: v_dual_add_nc_u32 v39, 0x258, v28
	v_fma_f32 v11, 0xbf3f9e67, v6, -v62
	v_fma_f32 v76, 0x3f116cb1, v2, -v76
	v_add_co_u32 v29, vcc_lo, s10, v24
	v_add_f32_e32 v18, v32, v73
	s_wait_alu 0xfffd
	v_add_co_ci_u32_e32 v32, vcc_lo, s11, v25, vcc_lo
	v_dual_add_f32 v102, v102, v109 :: v_dual_add_f32 v33, v83, v134
	s_delay_alu instid0(VALU_DEP_3) | instskip(SKIP_1) | instid1(VALU_DEP_3)
	v_add_f32_e32 v10, v18, v85
	v_dual_add_f32 v18, v0, v49 :: v_dual_add_f32 v43, v67, v76
	v_add_f32_e32 v86, v102, v101
	s_delay_alu instid0(VALU_DEP_3) | instskip(SKIP_3) | instid1(VALU_DEP_4)
	v_dual_add_f32 v9, v10, v92 :: v_dual_add_f32 v10, v1, v7
	v_add_f32_e32 v7, v13, v12
	v_add_nc_u32_e32 v12, 0x64, v28
	v_mad_co_u64_u32 v[0:1], null, s8, v28, 0
	v_add_f32_e32 v6, v9, v96
	v_fma_f32 v13, 0xbf788fa5, v2, -v60
	s_delay_alu instid0(VALU_DEP_4) | instskip(SKIP_3) | instid1(VALU_DEP_4)
	v_mad_co_u64_u32 v[8:9], null, s8, v12, 0
	v_add_f32_e32 v15, v86, v100
	v_add_f32_e32 v10, v10, v11
	v_mad_co_u64_u32 v[1:2], null, s9, v28, v[1:2]
	v_mov_b32_e32 v2, v9
	s_delay_alu instid0(VALU_DEP_2) | instskip(NEXT) | instid1(VALU_DEP_2)
	v_lshlrev_b64_e32 v[0:1], 3, v[0:1]
	v_mad_co_u64_u32 v[2:3], null, s9, v12, v[2:3]
	v_mov_b32_e32 v3, v5
	s_delay_alu instid0(VALU_DEP_3) | instskip(SKIP_1) | instid1(VALU_DEP_4)
	v_add_co_u32 v0, vcc_lo, v29, v0
	s_wait_alu 0xfffd
	v_add_co_ci_u32_e32 v1, vcc_lo, v32, v1, vcc_lo
	s_delay_alu instid0(VALU_DEP_4)
	v_mov_b32_e32 v9, v2
	v_mad_co_u64_u32 v[2:3], null, s9, v19, v[3:4]
	global_store_b64 v[0:1], v[26:27], off
	v_add_nc_u32_e32 v26, 0x190, v28
	v_lshlrev_b64_e32 v[8:9], 3, v[8:9]
	v_add_nc_u32_e32 v27, 0x1f4, v28
	v_mov_b32_e32 v5, v2
	s_delay_alu instid0(VALU_DEP_3) | instskip(SKIP_1) | instid1(VALU_DEP_4)
	v_add_co_u32 v0, vcc_lo, v29, v8
	s_wait_alu 0xfffd
	v_add_co_ci_u32_e32 v1, vcc_lo, v32, v9, vcc_lo
	s_delay_alu instid0(VALU_DEP_3)
	v_lshlrev_b64_e32 v[3:4], 3, v[4:5]
	v_mad_co_u64_u32 v[8:9], null, s8, v26, 0
	global_store_b64 v[0:1], v[14:15], off
	v_add_nc_u32_e32 v15, 0x384, v28
	v_add_f32_e32 v11, v18, v66
	v_mad_co_u64_u32 v[24:25], null, s8, v27, 0
	v_add_nc_u32_e32 v14, 0x2bc, v28
	s_delay_alu instid0(VALU_DEP_3) | instskip(NEXT) | instid1(VALU_DEP_3)
	v_add_f32_e32 v18, v11, v61
	v_dual_add_f32 v11, v10, v13 :: v_dual_mov_b32 v0, v25
	s_delay_alu instid0(VALU_DEP_2) | instskip(SKIP_1) | instid1(VALU_DEP_2)
	v_add_f32_e32 v10, v18, v58
	v_add_nc_u32_e32 v18, 0x12c, v28
	v_add_f32_e32 v10, v10, v55
	s_delay_alu instid0(VALU_DEP_2) | instskip(NEXT) | instid1(VALU_DEP_1)
	v_mad_co_u64_u32 v[12:13], null, s8, v18, 0
	v_mov_b32_e32 v2, v13
	s_delay_alu instid0(VALU_DEP_1) | instskip(SKIP_3) | instid1(VALU_DEP_3)
	v_mad_co_u64_u32 v[18:19], null, s9, v18, v[2:3]
	v_add_co_u32 v2, vcc_lo, v29, v3
	s_wait_alu 0xfffd
	v_add_co_ci_u32_e32 v3, vcc_lo, v32, v4, vcc_lo
	v_dual_mov_b32 v4, v9 :: v_dual_mov_b32 v13, v18
	v_mad_co_u64_u32 v[18:19], null, s8, v39, 0
	s_delay_alu instid0(VALU_DEP_2) | instskip(SKIP_4) | instid1(VALU_DEP_3)
	v_mad_co_u64_u32 v[4:5], null, s9, v26, v[4:5]
	global_store_b64 v[2:3], v[47:48], off
	v_lshlrev_b64_e32 v[1:2], 3, v[12:13]
	v_mad_co_u64_u32 v[12:13], null, s8, v14, 0
	v_mov_b32_e32 v9, v4
	v_mad_co_u64_u32 v[3:4], null, s9, v27, v[0:1]
	v_mov_b32_e32 v0, v19
	v_add_co_u32 v1, vcc_lo, v29, v1
	s_delay_alu instid0(VALU_DEP_4) | instskip(SKIP_2) | instid1(VALU_DEP_3)
	v_lshlrev_b64_e32 v[4:5], 3, v[8:9]
	s_wait_alu 0xfffd
	v_add_co_ci_u32_e32 v2, vcc_lo, v32, v2, vcc_lo
	v_mad_co_u64_u32 v[8:9], null, s9, v39, v[0:1]
	v_mov_b32_e32 v25, v3
	s_delay_alu instid0(VALU_DEP_4)
	v_add_co_u32 v3, vcc_lo, v29, v4
	s_wait_alu 0xfffd
	v_add_co_ci_u32_e32 v4, vcc_lo, v32, v5, vcc_lo
	global_store_b64 v[1:2], v[37:38], off
	v_mov_b32_e32 v19, v8
	v_lshlrev_b64_e32 v[1:2], 3, v[24:25]
	v_mov_b32_e32 v0, v13
	global_store_b64 v[3:4], v[35:36], off
	v_add_nc_u32_e32 v24, 0x4b0, v28
	v_lshlrev_b64_e32 v[3:4], 3, v[18:19]
	v_add_nc_u32_e32 v19, 0x44c, v28
	v_mad_co_u64_u32 v[8:9], null, s9, v14, v[0:1]
	v_add_co_u32 v0, vcc_lo, v29, v1
	s_wait_alu 0xfffd
	v_add_co_ci_u32_e32 v1, vcc_lo, v32, v2, vcc_lo
	v_add_co_u32 v2, vcc_lo, v29, v3
	s_wait_alu 0xfffd
	v_add_co_ci_u32_e32 v3, vcc_lo, v32, v4, vcc_lo
	v_add_nc_u32_e32 v14, 0x320, v28
	global_store_b64 v[0:1], v[33:34], off
	v_mov_b32_e32 v13, v8
	global_store_b64 v[2:3], v[16:17], off
	v_add_nc_u32_e32 v16, 0x3e8, v28
	v_mad_co_u64_u32 v[4:5], null, s8, v14, 0
	v_mad_co_u64_u32 v[2:3], null, s8, v15, 0
	s_delay_alu instid0(VALU_DEP_3) | instskip(SKIP_1) | instid1(VALU_DEP_4)
	v_mad_co_u64_u32 v[8:9], null, s8, v16, 0
	v_lshlrev_b64_e32 v[0:1], 3, v[12:13]
	v_mad_co_u64_u32 v[12:13], null, s9, v14, v[5:6]
	s_delay_alu instid0(VALU_DEP_4) | instskip(NEXT) | instid1(VALU_DEP_4)
	v_mad_co_u64_u32 v[13:14], null, s9, v15, v[3:4]
	v_mov_b32_e32 v3, v9
	v_mad_co_u64_u32 v[14:15], null, s8, v19, 0
	v_add_co_u32 v0, vcc_lo, v29, v0
	s_wait_alu 0xfffd
	v_add_co_ci_u32_e32 v1, vcc_lo, v32, v1, vcc_lo
	v_mad_co_u64_u32 v[16:17], null, s9, v16, v[3:4]
	v_mad_co_u64_u32 v[17:18], null, s8, v24, 0
	global_store_b64 v[0:1], v[22:23], off
	v_dual_mov_b32 v0, v15 :: v_dual_mov_b32 v3, v13
	v_mov_b32_e32 v5, v12
	v_mov_b32_e32 v9, v16
	s_delay_alu instid0(VALU_DEP_3) | instskip(NEXT) | instid1(VALU_DEP_4)
	v_mad_co_u64_u32 v[0:1], null, s9, v19, v[0:1]
	v_lshlrev_b64_e32 v[2:3], 3, v[2:3]
	v_mov_b32_e32 v1, v18
	v_lshlrev_b64_e32 v[4:5], 3, v[4:5]
	v_lshlrev_b64_e32 v[8:9], 3, v[8:9]
	s_delay_alu instid0(VALU_DEP_3) | instskip(NEXT) | instid1(VALU_DEP_3)
	v_mad_co_u64_u32 v[12:13], null, s9, v24, v[1:2]
	v_add_co_u32 v4, vcc_lo, v29, v4
	v_mov_b32_e32 v15, v0
	s_wait_alu 0xfffd
	v_add_co_ci_u32_e32 v5, vcc_lo, v32, v5, vcc_lo
	v_add_co_u32 v0, vcc_lo, v29, v2
	v_mov_b32_e32 v18, v12
	s_wait_alu 0xfffd
	v_add_co_ci_u32_e32 v1, vcc_lo, v32, v3, vcc_lo
	v_lshlrev_b64_e32 v[2:3], 3, v[14:15]
	v_add_co_u32 v8, vcc_lo, v29, v8
	v_lshlrev_b64_e32 v[12:13], 3, v[17:18]
	s_wait_alu 0xfffd
	v_add_co_ci_u32_e32 v9, vcc_lo, v32, v9, vcc_lo
	s_delay_alu instid0(VALU_DEP_4)
	v_add_co_u32 v2, vcc_lo, v29, v2
	s_wait_alu 0xfffd
	v_add_co_ci_u32_e32 v3, vcc_lo, v32, v3, vcc_lo
	v_add_co_u32 v12, vcc_lo, v29, v12
	s_wait_alu 0xfffd
	v_add_co_ci_u32_e32 v13, vcc_lo, v32, v13, vcc_lo
	s_clause 0x4
	global_store_b64 v[4:5], v[30:31], off
	global_store_b64 v[0:1], v[42:43], off
	;; [unrolled: 1-line block ×5, first 2 shown]
	s_nop 0
	s_sendmsg sendmsg(MSG_DEALLOC_VGPRS)
	s_endpgm
	.section	.rodata,"a",@progbits
	.p2align	6, 0x0
	.amdhsa_kernel fft_rtc_fwd_len1300_factors_10_10_13_wgs_130_tpt_130_sp_ip_CI_sbrr_dirReg
		.amdhsa_group_segment_fixed_size 0
		.amdhsa_private_segment_fixed_size 0
		.amdhsa_kernarg_size 88
		.amdhsa_user_sgpr_count 2
		.amdhsa_user_sgpr_dispatch_ptr 0
		.amdhsa_user_sgpr_queue_ptr 0
		.amdhsa_user_sgpr_kernarg_segment_ptr 1
		.amdhsa_user_sgpr_dispatch_id 0
		.amdhsa_user_sgpr_private_segment_size 0
		.amdhsa_wavefront_size32 1
		.amdhsa_uses_dynamic_stack 0
		.amdhsa_enable_private_segment 0
		.amdhsa_system_sgpr_workgroup_id_x 1
		.amdhsa_system_sgpr_workgroup_id_y 0
		.amdhsa_system_sgpr_workgroup_id_z 0
		.amdhsa_system_sgpr_workgroup_info 0
		.amdhsa_system_vgpr_workitem_id 0
		.amdhsa_next_free_vgpr 138
		.amdhsa_next_free_sgpr 35
		.amdhsa_reserve_vcc 1
		.amdhsa_float_round_mode_32 0
		.amdhsa_float_round_mode_16_64 0
		.amdhsa_float_denorm_mode_32 3
		.amdhsa_float_denorm_mode_16_64 3
		.amdhsa_fp16_overflow 0
		.amdhsa_workgroup_processor_mode 1
		.amdhsa_memory_ordered 1
		.amdhsa_forward_progress 0
		.amdhsa_round_robin_scheduling 0
		.amdhsa_exception_fp_ieee_invalid_op 0
		.amdhsa_exception_fp_denorm_src 0
		.amdhsa_exception_fp_ieee_div_zero 0
		.amdhsa_exception_fp_ieee_overflow 0
		.amdhsa_exception_fp_ieee_underflow 0
		.amdhsa_exception_fp_ieee_inexact 0
		.amdhsa_exception_int_div_zero 0
	.end_amdhsa_kernel
	.text
.Lfunc_end0:
	.size	fft_rtc_fwd_len1300_factors_10_10_13_wgs_130_tpt_130_sp_ip_CI_sbrr_dirReg, .Lfunc_end0-fft_rtc_fwd_len1300_factors_10_10_13_wgs_130_tpt_130_sp_ip_CI_sbrr_dirReg
                                        ; -- End function
	.section	.AMDGPU.csdata,"",@progbits
; Kernel info:
; codeLenInByte = 8796
; NumSgprs: 37
; NumVgprs: 138
; ScratchSize: 0
; MemoryBound: 0
; FloatMode: 240
; IeeeMode: 1
; LDSByteSize: 0 bytes/workgroup (compile time only)
; SGPRBlocks: 4
; VGPRBlocks: 17
; NumSGPRsForWavesPerEU: 37
; NumVGPRsForWavesPerEU: 138
; Occupancy: 10
; WaveLimiterHint : 1
; COMPUTE_PGM_RSRC2:SCRATCH_EN: 0
; COMPUTE_PGM_RSRC2:USER_SGPR: 2
; COMPUTE_PGM_RSRC2:TRAP_HANDLER: 0
; COMPUTE_PGM_RSRC2:TGID_X_EN: 1
; COMPUTE_PGM_RSRC2:TGID_Y_EN: 0
; COMPUTE_PGM_RSRC2:TGID_Z_EN: 0
; COMPUTE_PGM_RSRC2:TIDIG_COMP_CNT: 0
	.text
	.p2alignl 7, 3214868480
	.fill 96, 4, 3214868480
	.type	__hip_cuid_f4949af4ecdffa00,@object ; @__hip_cuid_f4949af4ecdffa00
	.section	.bss,"aw",@nobits
	.globl	__hip_cuid_f4949af4ecdffa00
__hip_cuid_f4949af4ecdffa00:
	.byte	0                               ; 0x0
	.size	__hip_cuid_f4949af4ecdffa00, 1

	.ident	"AMD clang version 19.0.0git (https://github.com/RadeonOpenCompute/llvm-project roc-6.4.0 25133 c7fe45cf4b819c5991fe208aaa96edf142730f1d)"
	.section	".note.GNU-stack","",@progbits
	.addrsig
	.addrsig_sym __hip_cuid_f4949af4ecdffa00
	.amdgpu_metadata
---
amdhsa.kernels:
  - .args:
      - .actual_access:  read_only
        .address_space:  global
        .offset:         0
        .size:           8
        .value_kind:     global_buffer
      - .offset:         8
        .size:           8
        .value_kind:     by_value
      - .actual_access:  read_only
        .address_space:  global
        .offset:         16
        .size:           8
        .value_kind:     global_buffer
      - .actual_access:  read_only
        .address_space:  global
        .offset:         24
        .size:           8
        .value_kind:     global_buffer
      - .offset:         32
        .size:           8
        .value_kind:     by_value
      - .actual_access:  read_only
        .address_space:  global
        .offset:         40
        .size:           8
        .value_kind:     global_buffer
      - .actual_access:  read_only
        .address_space:  global
        .offset:         48
        .size:           8
        .value_kind:     global_buffer
      - .offset:         56
        .size:           4
        .value_kind:     by_value
      - .actual_access:  read_only
        .address_space:  global
        .offset:         64
        .size:           8
        .value_kind:     global_buffer
      - .actual_access:  read_only
        .address_space:  global
        .offset:         72
        .size:           8
        .value_kind:     global_buffer
      - .address_space:  global
        .offset:         80
        .size:           8
        .value_kind:     global_buffer
    .group_segment_fixed_size: 0
    .kernarg_segment_align: 8
    .kernarg_segment_size: 88
    .language:       OpenCL C
    .language_version:
      - 2
      - 0
    .max_flat_workgroup_size: 130
    .name:           fft_rtc_fwd_len1300_factors_10_10_13_wgs_130_tpt_130_sp_ip_CI_sbrr_dirReg
    .private_segment_fixed_size: 0
    .sgpr_count:     37
    .sgpr_spill_count: 0
    .symbol:         fft_rtc_fwd_len1300_factors_10_10_13_wgs_130_tpt_130_sp_ip_CI_sbrr_dirReg.kd
    .uniform_work_group_size: 1
    .uses_dynamic_stack: false
    .vgpr_count:     138
    .vgpr_spill_count: 0
    .wavefront_size: 32
    .workgroup_processor_mode: 1
amdhsa.target:   amdgcn-amd-amdhsa--gfx1201
amdhsa.version:
  - 1
  - 2
...

	.end_amdgpu_metadata
